;; amdgpu-corpus repo=ROCm/rocFFT kind=compiled arch=gfx906 opt=O3
	.text
	.amdgcn_target "amdgcn-amd-amdhsa--gfx906"
	.amdhsa_code_object_version 6
	.protected	fft_rtc_back_len1372_factors_2_2_7_7_7_wgs_196_tpt_98_halfLds_sp_op_CI_CI_unitstride_sbrr_C2R_dirReg ; -- Begin function fft_rtc_back_len1372_factors_2_2_7_7_7_wgs_196_tpt_98_halfLds_sp_op_CI_CI_unitstride_sbrr_C2R_dirReg
	.globl	fft_rtc_back_len1372_factors_2_2_7_7_7_wgs_196_tpt_98_halfLds_sp_op_CI_CI_unitstride_sbrr_C2R_dirReg
	.p2align	8
	.type	fft_rtc_back_len1372_factors_2_2_7_7_7_wgs_196_tpt_98_halfLds_sp_op_CI_CI_unitstride_sbrr_C2R_dirReg,@function
fft_rtc_back_len1372_factors_2_2_7_7_7_wgs_196_tpt_98_halfLds_sp_op_CI_CI_unitstride_sbrr_C2R_dirReg: ; @fft_rtc_back_len1372_factors_2_2_7_7_7_wgs_196_tpt_98_halfLds_sp_op_CI_CI_unitstride_sbrr_C2R_dirReg
; %bb.0:
	s_load_dwordx4 s[8:11], s[4:5], 0x58
	s_load_dwordx4 s[12:15], s[4:5], 0x0
	;; [unrolled: 1-line block ×3, first 2 shown]
	v_mul_u32_u24_e32 v1, 0x29d, v0
	v_lshrrev_b32_e32 v5, 16, v1
	v_mov_b32_e32 v8, 0
	s_waitcnt lgkmcnt(0)
	v_cmp_lt_u64_e64 s[0:1], s[14:15], 2
	v_mov_b32_e32 v6, 0
	v_lshl_add_u32 v10, s6, 1, v5
	v_mov_b32_e32 v11, v8
	s_and_b64 vcc, exec, s[0:1]
	v_mov_b32_e32 v7, 0
	s_cbranch_vccnz .LBB0_8
; %bb.1:
	s_load_dwordx2 s[0:1], s[4:5], 0x10
	s_add_u32 s2, s18, 8
	s_addc_u32 s3, s19, 0
	s_add_u32 s6, s16, 8
	s_addc_u32 s7, s17, 0
	v_mov_b32_e32 v6, 0
	s_waitcnt lgkmcnt(0)
	s_add_u32 s20, s0, 8
	v_mov_b32_e32 v7, 0
	v_mov_b32_e32 v1, v6
	s_addc_u32 s21, s1, 0
	s_mov_b64 s[22:23], 1
	v_mov_b32_e32 v2, v7
.LBB0_2:                                ; =>This Inner Loop Header: Depth=1
	s_load_dwordx2 s[24:25], s[20:21], 0x0
                                        ; implicit-def: $vgpr3_vgpr4
	s_waitcnt lgkmcnt(0)
	v_or_b32_e32 v9, s25, v11
	v_cmp_ne_u64_e32 vcc, 0, v[8:9]
	s_and_saveexec_b64 s[0:1], vcc
	s_xor_b64 s[26:27], exec, s[0:1]
	s_cbranch_execz .LBB0_4
; %bb.3:                                ;   in Loop: Header=BB0_2 Depth=1
	v_cvt_f32_u32_e32 v3, s24
	v_cvt_f32_u32_e32 v4, s25
	s_sub_u32 s0, 0, s24
	s_subb_u32 s1, 0, s25
	v_mac_f32_e32 v3, 0x4f800000, v4
	v_rcp_f32_e32 v3, v3
	v_mul_f32_e32 v3, 0x5f7ffffc, v3
	v_mul_f32_e32 v4, 0x2f800000, v3
	v_trunc_f32_e32 v4, v4
	v_mac_f32_e32 v3, 0xcf800000, v4
	v_cvt_u32_f32_e32 v4, v4
	v_cvt_u32_f32_e32 v3, v3
	v_mul_lo_u32 v9, s0, v4
	v_mul_hi_u32 v12, s0, v3
	v_mul_lo_u32 v14, s1, v3
	v_mul_lo_u32 v13, s0, v3
	v_add_u32_e32 v9, v12, v9
	v_add_u32_e32 v9, v9, v14
	v_mul_hi_u32 v12, v3, v13
	v_mul_lo_u32 v14, v3, v9
	v_mul_hi_u32 v16, v3, v9
	v_mul_hi_u32 v15, v4, v13
	v_mul_lo_u32 v13, v4, v13
	v_mul_hi_u32 v17, v4, v9
	v_add_co_u32_e32 v12, vcc, v12, v14
	v_addc_co_u32_e32 v14, vcc, 0, v16, vcc
	v_mul_lo_u32 v9, v4, v9
	v_add_co_u32_e32 v12, vcc, v12, v13
	v_addc_co_u32_e32 v12, vcc, v14, v15, vcc
	v_addc_co_u32_e32 v13, vcc, 0, v17, vcc
	v_add_co_u32_e32 v9, vcc, v12, v9
	v_addc_co_u32_e32 v12, vcc, 0, v13, vcc
	v_add_co_u32_e32 v3, vcc, v3, v9
	v_addc_co_u32_e32 v4, vcc, v4, v12, vcc
	v_mul_lo_u32 v9, s0, v4
	v_mul_hi_u32 v12, s0, v3
	v_mul_lo_u32 v13, s1, v3
	v_mul_lo_u32 v14, s0, v3
	v_add_u32_e32 v9, v12, v9
	v_add_u32_e32 v9, v9, v13
	v_mul_lo_u32 v15, v3, v9
	v_mul_hi_u32 v16, v3, v14
	v_mul_hi_u32 v17, v3, v9
	;; [unrolled: 1-line block ×3, first 2 shown]
	v_mul_lo_u32 v14, v4, v14
	v_mul_hi_u32 v12, v4, v9
	v_add_co_u32_e32 v15, vcc, v16, v15
	v_addc_co_u32_e32 v16, vcc, 0, v17, vcc
	v_mul_lo_u32 v9, v4, v9
	v_add_co_u32_e32 v14, vcc, v15, v14
	v_addc_co_u32_e32 v13, vcc, v16, v13, vcc
	v_addc_co_u32_e32 v12, vcc, 0, v12, vcc
	v_add_co_u32_e32 v9, vcc, v13, v9
	v_addc_co_u32_e32 v12, vcc, 0, v12, vcc
	v_add_co_u32_e32 v9, vcc, v3, v9
	v_addc_co_u32_e32 v12, vcc, v4, v12, vcc
	v_mad_u64_u32 v[3:4], s[0:1], v10, v12, 0
	v_mul_hi_u32 v13, v10, v9
	v_add_co_u32_e32 v14, vcc, v13, v3
	v_addc_co_u32_e32 v15, vcc, 0, v4, vcc
	v_mad_u64_u32 v[3:4], s[0:1], v11, v9, 0
	v_mad_u64_u32 v[12:13], s[0:1], v11, v12, 0
	v_add_co_u32_e32 v3, vcc, v14, v3
	v_addc_co_u32_e32 v3, vcc, v15, v4, vcc
	v_addc_co_u32_e32 v4, vcc, 0, v13, vcc
	v_add_co_u32_e32 v9, vcc, v3, v12
	v_addc_co_u32_e32 v12, vcc, 0, v4, vcc
	v_mul_lo_u32 v13, s25, v9
	v_mul_lo_u32 v14, s24, v12
	v_mad_u64_u32 v[3:4], s[0:1], s24, v9, 0
	v_add3_u32 v4, v4, v14, v13
	v_sub_u32_e32 v13, v11, v4
	v_mov_b32_e32 v14, s25
	v_sub_co_u32_e32 v3, vcc, v10, v3
	v_subb_co_u32_e64 v13, s[0:1], v13, v14, vcc
	v_subrev_co_u32_e64 v14, s[0:1], s24, v3
	v_subbrev_co_u32_e64 v13, s[0:1], 0, v13, s[0:1]
	v_cmp_le_u32_e64 s[0:1], s25, v13
	v_cndmask_b32_e64 v15, 0, -1, s[0:1]
	v_cmp_le_u32_e64 s[0:1], s24, v14
	v_cndmask_b32_e64 v14, 0, -1, s[0:1]
	v_cmp_eq_u32_e64 s[0:1], s25, v13
	v_cndmask_b32_e64 v13, v15, v14, s[0:1]
	v_add_co_u32_e64 v14, s[0:1], 2, v9
	v_addc_co_u32_e64 v15, s[0:1], 0, v12, s[0:1]
	v_add_co_u32_e64 v16, s[0:1], 1, v9
	v_addc_co_u32_e64 v17, s[0:1], 0, v12, s[0:1]
	v_subb_co_u32_e32 v4, vcc, v11, v4, vcc
	v_cmp_ne_u32_e64 s[0:1], 0, v13
	v_cmp_le_u32_e32 vcc, s25, v4
	v_cndmask_b32_e64 v13, v17, v15, s[0:1]
	v_cndmask_b32_e64 v15, 0, -1, vcc
	v_cmp_le_u32_e32 vcc, s24, v3
	v_cndmask_b32_e64 v3, 0, -1, vcc
	v_cmp_eq_u32_e32 vcc, s25, v4
	v_cndmask_b32_e32 v3, v15, v3, vcc
	v_cmp_ne_u32_e32 vcc, 0, v3
	v_cndmask_b32_e64 v3, v16, v14, s[0:1]
	v_cndmask_b32_e32 v4, v12, v13, vcc
	v_cndmask_b32_e32 v3, v9, v3, vcc
.LBB0_4:                                ;   in Loop: Header=BB0_2 Depth=1
	s_andn2_saveexec_b64 s[0:1], s[26:27]
	s_cbranch_execz .LBB0_6
; %bb.5:                                ;   in Loop: Header=BB0_2 Depth=1
	v_cvt_f32_u32_e32 v3, s24
	s_sub_i32 s26, 0, s24
	v_rcp_iflag_f32_e32 v3, v3
	v_mul_f32_e32 v3, 0x4f7ffffe, v3
	v_cvt_u32_f32_e32 v3, v3
	v_mul_lo_u32 v4, s26, v3
	v_mul_hi_u32 v4, v3, v4
	v_add_u32_e32 v3, v3, v4
	v_mul_hi_u32 v3, v10, v3
	v_mul_lo_u32 v4, v3, s24
	v_add_u32_e32 v9, 1, v3
	v_sub_u32_e32 v4, v10, v4
	v_subrev_u32_e32 v12, s24, v4
	v_cmp_le_u32_e32 vcc, s24, v4
	v_cndmask_b32_e32 v4, v4, v12, vcc
	v_cndmask_b32_e32 v3, v3, v9, vcc
	v_add_u32_e32 v9, 1, v3
	v_cmp_le_u32_e32 vcc, s24, v4
	v_cndmask_b32_e32 v3, v3, v9, vcc
	v_mov_b32_e32 v4, v8
.LBB0_6:                                ;   in Loop: Header=BB0_2 Depth=1
	s_or_b64 exec, exec, s[0:1]
	v_mul_lo_u32 v9, v4, s24
	v_mul_lo_u32 v14, v3, s25
	v_mad_u64_u32 v[12:13], s[0:1], v3, s24, 0
	s_load_dwordx2 s[0:1], s[6:7], 0x0
	s_load_dwordx2 s[24:25], s[2:3], 0x0
	v_add3_u32 v9, v13, v14, v9
	v_sub_co_u32_e32 v10, vcc, v10, v12
	v_subb_co_u32_e32 v9, vcc, v11, v9, vcc
	s_waitcnt lgkmcnt(0)
	v_mul_lo_u32 v11, s0, v9
	v_mul_lo_u32 v12, s1, v10
	v_mad_u64_u32 v[6:7], s[0:1], s0, v10, v[6:7]
	v_mul_lo_u32 v9, s24, v9
	v_mul_lo_u32 v13, s25, v10
	v_mad_u64_u32 v[1:2], s[0:1], s24, v10, v[1:2]
	s_add_u32 s22, s22, 1
	s_addc_u32 s23, s23, 0
	s_add_u32 s2, s2, 8
	v_add3_u32 v2, v13, v2, v9
	s_addc_u32 s3, s3, 0
	v_mov_b32_e32 v9, s14
	s_add_u32 s6, s6, 8
	v_mov_b32_e32 v10, s15
	s_addc_u32 s7, s7, 0
	v_cmp_ge_u64_e32 vcc, s[22:23], v[9:10]
	s_add_u32 s20, s20, 8
	v_add3_u32 v7, v12, v7, v11
	s_addc_u32 s21, s21, 0
	s_cbranch_vccnz .LBB0_9
; %bb.7:                                ;   in Loop: Header=BB0_2 Depth=1
	v_mov_b32_e32 v11, v4
	v_mov_b32_e32 v10, v3
	s_branch .LBB0_2
.LBB0_8:
	v_mov_b32_e32 v1, v6
	v_mov_b32_e32 v3, v10
	;; [unrolled: 1-line block ×4, first 2 shown]
.LBB0_9:
	s_load_dwordx2 s[2:3], s[4:5], 0x28
	s_lshl_b64 s[6:7], s[14:15], 3
	s_add_u32 s14, s18, s6
	v_and_b32_e32 v5, 1, v5
	s_addc_u32 s15, s19, s7
	s_waitcnt lgkmcnt(0)
	v_cmp_gt_u64_e64 s[0:1], s[2:3], v[3:4]
	v_cmp_le_u64_e64 s[2:3], s[2:3], v[3:4]
	v_cmp_eq_u32_e32 vcc, 1, v5
	v_mov_b32_e32 v8, 0x55d
                                        ; implicit-def: $vgpr5
	s_and_saveexec_b64 s[4:5], s[2:3]
	s_xor_b64 s[2:3], exec, s[4:5]
; %bb.10:
	s_mov_b32 s4, 0x29cbc15
	v_mul_hi_u32 v5, v0, s4
                                        ; implicit-def: $vgpr6_vgpr7
	v_mul_u32_u24_e32 v5, 0x62, v5
	v_sub_u32_e32 v5, v0, v5
                                        ; implicit-def: $vgpr0
; %bb.11:
	s_or_saveexec_b64 s[4:5], s[2:3]
	s_load_dwordx2 s[2:3], s[14:15], 0x0
	v_cndmask_b32_e32 v8, 0, v8, vcc
	v_lshlrev_b32_e32 v12, 3, v8
	s_xor_b64 exec, exec, s[4:5]
	s_cbranch_execz .LBB0_15
; %bb.12:
	s_add_u32 s6, s16, s6
	s_addc_u32 s7, s17, s7
	s_load_dwordx2 s[6:7], s[6:7], 0x0
	s_mov_b32 s14, 0x29cbc15
	v_mul_hi_u32 v5, v0, s14
	v_lshlrev_b64 v[6:7], 3, v[6:7]
	s_waitcnt lgkmcnt(0)
	v_mul_lo_u32 v11, s7, v3
	v_mul_lo_u32 v13, s6, v4
	v_mad_u64_u32 v[9:10], s[6:7], s6, v3, 0
	v_mul_u32_u24_e32 v5, 0x62, v5
	v_sub_u32_e32 v5, v0, v5
	v_add3_u32 v10, v10, v13, v11
	v_lshlrev_b64 v[9:10], 3, v[9:10]
	v_mov_b32_e32 v0, s9
	v_add_co_u32_e32 v9, vcc, s8, v9
	v_addc_co_u32_e32 v0, vcc, v0, v10, vcc
	v_add_co_u32_e32 v6, vcc, v9, v6
	v_addc_co_u32_e32 v0, vcc, v0, v7, vcc
	v_lshlrev_b32_e32 v7, 3, v5
	v_add_co_u32_e32 v9, vcc, v6, v7
	v_addc_co_u32_e32 v10, vcc, 0, v0, vcc
	s_movk_i32 s6, 0x1000
	v_add_co_u32_e32 v15, vcc, s6, v9
	v_addc_co_u32_e32 v16, vcc, 0, v10, vcc
	v_add_co_u32_e32 v25, vcc, 0x2000, v9
	global_load_dwordx2 v[13:14], v[9:10], off offset:2352
	global_load_dwordx2 v[17:18], v[9:10], off offset:3136
	;; [unrolled: 1-line block ×5, first 2 shown]
	v_addc_co_u32_e32 v26, vcc, 0, v10, vcc
	global_load_dwordx2 v[27:28], v[9:10], off
	global_load_dwordx2 v[29:30], v[9:10], off offset:1568
	global_load_dwordx2 v[31:32], v[9:10], off offset:784
	;; [unrolled: 1-line block ×8, first 2 shown]
	s_movk_i32 s6, 0x61
	v_add3_u32 v7, 0, v12, v7
	v_add_u32_e32 v9, 0x400, v7
	v_cmp_eq_u32_e32 vcc, s6, v5
	v_add_u32_e32 v10, 0x800, v7
	v_add_u32_e32 v11, 0x1000, v7
	;; [unrolled: 1-line block ×5, first 2 shown]
	s_waitcnt vmcnt(7)
	ds_write2_b64 v9, v[29:30], v[13:14] offset0:68 offset1:166
	ds_write2_b64 v10, v[17:18], v[19:20] offset0:136 offset1:234
	s_waitcnt vmcnt(6)
	ds_write2_b64 v7, v[27:28], v[31:32] offset1:98
	ds_write2_b64 v11, v[21:22], v[23:24] offset0:76 offset1:174
	s_waitcnt vmcnt(4)
	ds_write2_b64 v15, v[33:34], v[35:36] offset0:16 offset1:114
	s_waitcnt vmcnt(2)
	ds_write2_b64 v16, v[37:38], v[39:40] offset0:84 offset1:182
	s_waitcnt vmcnt(0)
	ds_write2_b64 v25, v[41:42], v[43:44] offset0:152 offset1:250
	s_and_saveexec_b64 s[6:7], vcc
	s_cbranch_execz .LBB0_14
; %bb.13:
	v_add_co_u32_e32 v5, vcc, 0x2000, v6
	v_addc_co_u32_e32 v6, vcc, 0, v0, vcc
	global_load_dwordx2 v[5:6], v[5:6], off offset:2784
	s_waitcnt vmcnt(0)
	ds_write_b64 v7, v[5:6] offset:10200
	v_mov_b32_e32 v5, 0x61
.LBB0_14:
	s_or_b64 exec, exec, s[6:7]
.LBB0_15:
	s_or_b64 exec, exec, s[4:5]
	v_lshl_add_u32 v0, v8, 3, 0
	v_lshlrev_b32_e32 v14, 3, v5
	v_add_u32_e32 v11, v0, v14
	s_waitcnt lgkmcnt(0)
	s_barrier
	v_sub_u32_e32 v15, v0, v14
	ds_read_b32 v13, v11
	ds_read_b32 v16, v15 offset:10976
	s_add_u32 s6, s12, 0x2ad0
	s_addc_u32 s7, s13, 0
	v_cmp_ne_u32_e32 vcc, 0, v5
                                        ; implicit-def: $vgpr9_vgpr10
	s_waitcnt lgkmcnt(0)
	v_add_f32_e32 v7, v16, v13
	v_sub_f32_e32 v8, v13, v16
	s_and_saveexec_b64 s[4:5], vcc
	s_xor_b64 s[4:5], exec, s[4:5]
	s_cbranch_execz .LBB0_17
; %bb.16:
	v_mov_b32_e32 v6, 0
	v_lshlrev_b64 v[7:8], 3, v[5:6]
	v_mov_b32_e32 v9, s7
	v_add_co_u32_e32 v7, vcc, s6, v7
	v_addc_co_u32_e32 v8, vcc, v9, v8, vcc
	global_load_dwordx2 v[9:10], v[7:8], off
	ds_read_b32 v7, v15 offset:10980
	ds_read_b32 v8, v11 offset:4
	v_add_f32_e32 v17, v16, v13
	v_sub_f32_e32 v13, v13, v16
	s_waitcnt lgkmcnt(0)
	v_add_f32_e32 v18, v7, v8
	v_sub_f32_e32 v7, v8, v7
	s_waitcnt vmcnt(0)
	v_fma_f32 v19, v13, v10, v17
	v_fma_f32 v8, v18, v10, v7
	v_fma_f32 v16, -v13, v10, v17
	v_fma_f32 v17, v18, v10, -v7
	v_fma_f32 v7, -v9, v18, v19
	v_fmac_f32_e32 v8, v13, v9
	v_fmac_f32_e32 v16, v9, v18
	;; [unrolled: 1-line block ×3, first 2 shown]
	v_mov_b32_e32 v10, v6
	ds_write_b64 v15, v[16:17] offset:10976
	v_mov_b32_e32 v9, v5
.LBB0_17:
	s_andn2_saveexec_b64 s[4:5], s[4:5]
	s_cbranch_execz .LBB0_19
; %bb.18:
	ds_read_b64 v[9:10], v0 offset:5488
	s_waitcnt lgkmcnt(0)
	v_add_f32_e32 v16, v9, v9
	v_mul_f32_e32 v17, -2.0, v10
	v_mov_b32_e32 v9, 0
	v_mov_b32_e32 v10, 0
	ds_write_b64 v0, v[16:17] offset:5488
.LBB0_19:
	s_or_b64 exec, exec, s[4:5]
	v_lshlrev_b64 v[9:10], 3, v[9:10]
	v_mov_b32_e32 v6, s7
	v_add_co_u32_e32 v9, vcc, s6, v9
	v_addc_co_u32_e32 v10, vcc, v6, v10, vcc
	global_load_dwordx2 v[16:17], v[9:10], off offset:784
	global_load_dwordx2 v[18:19], v[9:10], off offset:1568
	;; [unrolled: 1-line block ×4, first 2 shown]
	ds_write_b64 v11, v[7:8]
	ds_read_b64 v[6:7], v11 offset:784
	ds_read_b64 v[24:25], v15 offset:10192
	global_load_dwordx2 v[26:27], v[9:10], off offset:3920
	s_movk_i32 s4, 0x1000
	v_add_u32_e32 v45, 0xc4, v5
	v_add_u32_e32 v46, 0x126, v5
	s_waitcnt lgkmcnt(0)
	v_add_f32_e32 v8, v6, v24
	v_add_f32_e32 v13, v25, v7
	v_sub_f32_e32 v28, v6, v24
	v_sub_f32_e32 v24, v7, v25
	v_add_u32_e32 v47, 0x188, v5
	v_add_u32_e32 v48, 0x1ea, v5
	;; [unrolled: 1-line block ×3, first 2 shown]
	v_and_b32_e32 v50, 1, v5
	s_movk_i32 s5, 0xfc
	s_mov_b32 s7, 0xbf5ff5aa
	s_mov_b32 s8, 0xbf3bfb3b
	;; [unrolled: 1-line block ×3, first 2 shown]
	s_movk_i32 s9, 0x620
	s_waitcnt vmcnt(4)
	v_fma_f32 v29, v28, v17, v8
	v_fma_f32 v25, v13, v17, v24
	v_fma_f32 v6, -v28, v17, v8
	v_fma_f32 v7, v13, v17, -v24
	v_fma_f32 v24, -v16, v13, v29
	v_fmac_f32_e32 v25, v28, v16
	v_add_co_u32_e32 v8, vcc, s4, v9
	v_fmac_f32_e32 v6, v16, v13
	v_fmac_f32_e32 v7, v28, v16
	ds_write_b64 v11, v[24:25] offset:784
	ds_write_b64 v15, v[6:7] offset:10192
	v_addc_co_u32_e32 v9, vcc, 0, v10, vcc
	ds_read_b64 v[6:7], v11 offset:1568
	ds_read_b64 v[16:17], v15 offset:9408
	global_load_dwordx2 v[24:25], v[8:9], off offset:608
	s_waitcnt lgkmcnt(0)
	v_add_f32_e32 v8, v6, v16
	v_add_f32_e32 v10, v17, v7
	v_sub_f32_e32 v13, v6, v16
	v_sub_f32_e32 v9, v7, v17
	s_waitcnt vmcnt(4)
	v_fma_f32 v16, v13, v19, v8
	v_fma_f32 v7, v10, v19, -v9
	v_fma_f32 v9, v10, v19, v9
	v_fma_f32 v6, -v13, v19, v8
	v_fma_f32 v8, -v18, v10, v16
	v_fmac_f32_e32 v9, v13, v18
	v_fmac_f32_e32 v6, v18, v10
	;; [unrolled: 1-line block ×3, first 2 shown]
	ds_write_b64 v11, v[8:9] offset:1568
	ds_write_b64 v15, v[6:7] offset:9408
	ds_read_b64 v[6:7], v11 offset:2352
	ds_read_b64 v[8:9], v15 offset:8624
	s_waitcnt lgkmcnt(0)
	v_add_f32_e32 v10, v6, v8
	v_add_f32_e32 v13, v9, v7
	v_sub_f32_e32 v16, v6, v8
	v_sub_f32_e32 v6, v7, v9
	s_waitcnt vmcnt(3)
	v_fma_f32 v17, v16, v21, v10
	v_fma_f32 v7, v13, v21, v6
	v_fma_f32 v8, -v16, v21, v10
	v_fma_f32 v9, v13, v21, -v6
	v_fma_f32 v6, -v20, v13, v17
	v_fmac_f32_e32 v7, v16, v20
	v_fmac_f32_e32 v8, v20, v13
	;; [unrolled: 1-line block ×3, first 2 shown]
	ds_write_b64 v11, v[6:7] offset:2352
	ds_write_b64 v15, v[8:9] offset:8624
	ds_read_b64 v[6:7], v11 offset:3136
	ds_read_b64 v[8:9], v15 offset:7840
	s_waitcnt lgkmcnt(0)
	v_add_f32_e32 v10, v6, v8
	v_add_f32_e32 v13, v9, v7
	v_sub_f32_e32 v16, v6, v8
	v_sub_f32_e32 v6, v7, v9
	s_waitcnt vmcnt(2)
	v_fma_f32 v17, v16, v23, v10
	v_fma_f32 v7, v13, v23, v6
	v_fma_f32 v8, -v16, v23, v10
	v_fma_f32 v9, v13, v23, -v6
	v_fma_f32 v6, -v22, v13, v17
	v_fmac_f32_e32 v7, v16, v22
	v_fmac_f32_e32 v8, v22, v13
	;; [unrolled: 1-line block ×3, first 2 shown]
	ds_write_b64 v11, v[6:7] offset:3136
	ds_write_b64 v15, v[8:9] offset:7840
	ds_read_b64 v[7:8], v11 offset:3920
	ds_read_b64 v[16:17], v15 offset:7056
	v_add3_u32 v6, 0, v14, v12
	v_add_u32_e32 v10, 0x1400, v6
	v_add_u32_e32 v14, v6, v14
	s_waitcnt lgkmcnt(0)
	v_add_f32_e32 v9, v7, v16
	v_add_f32_e32 v13, v17, v8
	v_sub_f32_e32 v18, v7, v16
	v_sub_f32_e32 v7, v8, v17
	s_waitcnt vmcnt(1)
	v_fma_f32 v19, v18, v27, v9
	v_fma_f32 v8, v13, v27, v7
	v_fma_f32 v16, -v18, v27, v9
	v_fma_f32 v17, v13, v27, -v7
	v_fma_f32 v7, -v26, v13, v19
	v_fmac_f32_e32 v8, v18, v26
	v_fmac_f32_e32 v16, v26, v13
	;; [unrolled: 1-line block ×3, first 2 shown]
	ds_write_b64 v11, v[7:8] offset:3920
	ds_write_b64 v15, v[16:17] offset:7056
	ds_read_b64 v[16:17], v11 offset:4704
	ds_read_b64 v[18:19], v15 offset:6272
	v_add_u32_e32 v7, 0x1800, v6
	v_add_u32_e32 v9, 0x800, v6
	;; [unrolled: 1-line block ×4, first 2 shown]
	s_waitcnt lgkmcnt(0)
	v_add_f32_e32 v20, v16, v18
	v_add_f32_e32 v21, v19, v17
	v_sub_f32_e32 v22, v16, v18
	v_sub_f32_e32 v16, v17, v19
	s_waitcnt vmcnt(0)
	v_fma_f32 v23, v22, v25, v20
	v_fma_f32 v17, v21, v25, v16
	v_fma_f32 v18, -v22, v25, v20
	v_fma_f32 v19, v21, v25, -v16
	v_fma_f32 v16, -v24, v21, v23
	v_fmac_f32_e32 v17, v22, v24
	v_fmac_f32_e32 v18, v24, v21
	;; [unrolled: 1-line block ×3, first 2 shown]
	ds_write_b64 v11, v[16:17] offset:4704
	ds_write_b64 v15, v[18:19] offset:6272
	s_waitcnt lgkmcnt(0)
	s_barrier
	s_barrier
	ds_read2_b64 v[15:18], v10 offset0:46 offset1:144
	ds_read_b64 v[35:36], v11
	ds_read_b64 v[39:40], v6 offset:10192
	ds_read2_b64 v[19:22], v6 offset0:98 offset1:196
	ds_read2_b64 v[23:26], v7 offset0:114 offset1:212
	;; [unrolled: 1-line block ×4, first 2 shown]
	s_waitcnt lgkmcnt(5)
	v_sub_f32_e32 v15, v35, v15
	v_sub_f32_e32 v16, v36, v16
	v_fma_f32 v41, v35, 2.0, -v15
	v_fma_f32 v42, v36, 2.0, -v16
	ds_read2_b64 v[35:38], v13 offset0:106 offset1:204
	s_waitcnt lgkmcnt(0)
	s_barrier
	ds_write2_b64 v14, v[41:42], v[15:16] offset1:1
	v_sub_f32_e32 v15, v19, v17
	v_add_u32_e32 v14, 0x62, v5
	v_sub_f32_e32 v16, v20, v18
	v_fma_f32 v17, v19, 2.0, -v15
	v_lshlrev_b32_e32 v19, 4, v14
	v_fma_f32 v18, v20, 2.0, -v16
	v_add3_u32 v19, 0, v19, v12
	ds_write2_b64 v19, v[17:18], v[15:16] offset1:1
	v_sub_f32_e32 v15, v21, v23
	v_sub_f32_e32 v16, v22, v24
	v_lshlrev_b32_e32 v19, 4, v45
	v_fma_f32 v17, v21, 2.0, -v15
	v_fma_f32 v18, v22, 2.0, -v16
	v_add3_u32 v19, 0, v19, v12
	ds_write2_b64 v19, v[17:18], v[15:16] offset1:1
	v_sub_f32_e32 v15, v27, v25
	v_sub_f32_e32 v16, v28, v26
	v_lshlrev_b32_e32 v19, 4, v46
	v_fma_f32 v17, v27, 2.0, -v15
	;; [unrolled: 7-line block ×5, first 2 shown]
	v_fma_f32 v18, v38, 2.0, -v16
	v_add3_u32 v19, 0, v19, v12
	ds_write2_b64 v19, v[17:18], v[15:16] offset1:1
	v_lshlrev_b32_e32 v15, 3, v50
	s_waitcnt lgkmcnt(0)
	s_barrier
	global_load_dwordx2 v[39:40], v15, s[12:13]
	v_lshlrev_b32_e32 v15, 1, v5
	v_and_or_b32 v15, v15, s5, v50
	v_lshlrev_b32_e32 v15, 3, v15
	v_add3_u32 v51, 0, v15, v12
	ds_read2_b64 v[15:18], v10 offset0:46 offset1:144
	ds_read_b64 v[41:42], v11
	ds_read_b64 v[43:44], v6 offset:10192
	ds_read2_b64 v[19:22], v6 offset0:98 offset1:196
	ds_read2_b64 v[23:26], v7 offset0:114 offset1:212
	;; [unrolled: 1-line block ×5, first 2 shown]
	s_waitcnt vmcnt(0) lgkmcnt(0)
	s_barrier
	s_movk_i32 s5, 0x1fc
	v_mul_f32_e32 v52, v40, v16
	v_mul_f32_e32 v53, v40, v15
	v_fmac_f32_e32 v52, v39, v15
	v_fma_f32 v16, v39, v16, -v53
	v_sub_f32_e32 v15, v41, v52
	v_sub_f32_e32 v16, v42, v16
	v_fma_f32 v41, v41, 2.0, -v15
	v_fma_f32 v42, v42, 2.0, -v16
	ds_write2_b64 v51, v[41:42], v[15:16] offset1:2
	v_mul_f32_e32 v15, v40, v18
	v_fmac_f32_e32 v15, v39, v17
	v_sub_f32_e32 v15, v19, v15
	v_mul_f32_e32 v16, v40, v17
	v_fma_f32 v17, v19, 2.0, -v15
	v_lshlrev_b32_e32 v19, 1, v14
	v_fma_f32 v16, v39, v18, -v16
	v_and_or_b32 v19, v19, s5, v50
	v_sub_f32_e32 v16, v20, v16
	v_lshlrev_b32_e32 v19, 3, v19
	v_fma_f32 v18, v20, 2.0, -v16
	v_add3_u32 v19, 0, v19, v12
	ds_write2_b64 v19, v[17:18], v[15:16] offset1:2
	v_mul_f32_e32 v15, v40, v24
	v_mul_f32_e32 v16, v40, v23
	v_lshlrev_b32_e32 v19, 1, v45
	s_movk_i32 s5, 0x3fc
	v_fmac_f32_e32 v15, v39, v23
	v_fma_f32 v16, v39, v24, -v16
	v_and_or_b32 v19, v19, s5, v50
	v_sub_f32_e32 v15, v21, v15
	v_sub_f32_e32 v16, v22, v16
	v_lshlrev_b32_e32 v19, 3, v19
	v_fma_f32 v17, v21, 2.0, -v15
	v_fma_f32 v18, v22, 2.0, -v16
	v_add3_u32 v19, 0, v19, v12
	ds_write2_b64 v19, v[17:18], v[15:16] offset1:2
	v_mul_f32_e32 v15, v40, v26
	v_mul_f32_e32 v16, v40, v25
	v_lshlrev_b32_e32 v19, 1, v46
	v_fmac_f32_e32 v15, v39, v25
	v_fma_f32 v16, v39, v26, -v16
	v_and_or_b32 v19, v19, s5, v50
	v_sub_f32_e32 v15, v27, v15
	v_sub_f32_e32 v16, v28, v16
	v_lshlrev_b32_e32 v19, 3, v19
	v_fma_f32 v17, v27, 2.0, -v15
	v_fma_f32 v18, v28, 2.0, -v16
	v_add3_u32 v19, 0, v19, v12
	ds_write2_b64 v19, v[17:18], v[15:16] offset1:2
	v_mul_f32_e32 v15, v40, v32
	v_mul_f32_e32 v16, v40, v31
	v_lshlrev_b32_e32 v19, 1, v47
	s_movk_i32 s5, 0x7fc
	v_fmac_f32_e32 v15, v39, v31
	v_fma_f32 v16, v39, v32, -v16
	v_and_or_b32 v19, v19, s5, v50
	v_sub_f32_e32 v15, v29, v15
	v_sub_f32_e32 v16, v30, v16
	v_lshlrev_b32_e32 v19, 3, v19
	v_fma_f32 v17, v29, 2.0, -v15
	v_fma_f32 v18, v30, 2.0, -v16
	v_add3_u32 v19, 0, v19, v12
	ds_write2_b64 v19, v[17:18], v[15:16] offset1:2
	v_mul_f32_e32 v15, v40, v34
	v_mul_f32_e32 v16, v40, v33
	v_lshlrev_b32_e32 v19, 1, v48
	v_fmac_f32_e32 v15, v39, v33
	v_fma_f32 v16, v39, v34, -v16
	v_and_or_b32 v19, v19, s5, v50
	v_sub_f32_e32 v15, v35, v15
	v_sub_f32_e32 v16, v36, v16
	v_lshlrev_b32_e32 v19, 3, v19
	v_fma_f32 v17, v35, 2.0, -v15
	v_fma_f32 v18, v36, 2.0, -v16
	v_add3_u32 v19, 0, v19, v12
	ds_write2_b64 v19, v[17:18], v[15:16] offset1:2
	v_mul_f32_e32 v15, v40, v44
	v_mul_f32_e32 v16, v40, v43
	v_lshlrev_b32_e32 v19, 1, v49
	s_movk_i32 s5, 0x5fc
	v_fmac_f32_e32 v15, v39, v43
	v_fma_f32 v16, v39, v44, -v16
	v_and_or_b32 v19, v19, s5, v50
	v_sub_f32_e32 v15, v37, v15
	v_sub_f32_e32 v16, v38, v16
	v_lshlrev_b32_e32 v19, 3, v19
	v_fma_f32 v17, v37, 2.0, -v15
	v_fma_f32 v18, v38, 2.0, -v16
	v_add3_u32 v19, 0, v19, v12
	ds_write2_b64 v19, v[17:18], v[15:16] offset1:2
	v_and_b32_e32 v15, 3, v14
	v_mul_u32_u24_e32 v16, 6, v15
	v_lshlrev_b32_e32 v40, 3, v16
	s_waitcnt lgkmcnt(0)
	s_barrier
	global_load_dwordx4 v[16:19], v40, s[12:13] offset:48
	v_and_b32_e32 v48, 3, v5
	v_mul_u32_u24_e32 v20, 6, v48
	v_lshlrev_b32_e32 v41, 3, v20
	global_load_dwordx4 v[20:23], v41, s[12:13] offset:48
	global_load_dwordx4 v[24:27], v40, s[12:13] offset:32
	;; [unrolled: 1-line block ×5, first 2 shown]
	ds_read_b64 v[44:45], v6 offset:10192
	ds_read2_b64 v[40:43], v8 offset0:54 offset1:152
	ds_read_b64 v[46:47], v11
	s_mov_b32 s5, 0x3f3bfb3b
	s_waitcnt vmcnt(5) lgkmcnt(2)
	v_mul_f32_e32 v49, v45, v19
	v_mul_f32_e32 v19, v44, v19
	v_fmac_f32_e32 v49, v44, v18
	v_fma_f32 v44, v45, v18, -v19
	s_waitcnt lgkmcnt(1)
	v_mul_f32_e32 v45, v41, v17
	v_mul_f32_e32 v17, v40, v17
	v_fmac_f32_e32 v45, v40, v16
	v_fma_f32 v40, v41, v16, -v17
	ds_read2_b64 v[16:19], v7 offset0:114 offset1:212
	s_waitcnt vmcnt(4)
	v_mul_f32_e32 v41, v43, v23
	v_mul_f32_e32 v23, v42, v23
	v_fmac_f32_e32 v41, v42, v22
	v_fma_f32 v22, v43, v22, -v23
	s_waitcnt lgkmcnt(0)
	v_mul_f32_e32 v23, v21, v19
	v_fmac_f32_e32 v23, v20, v18
	v_mul_f32_e32 v18, v21, v18
	v_fma_f32 v42, v20, v19, -v18
	ds_read2_b64 v[18:21], v10 offset0:46 offset1:144
	s_waitcnt vmcnt(3)
	v_mul_f32_e32 v43, v17, v27
	v_fmac_f32_e32 v43, v16, v26
	v_mul_f32_e32 v16, v16, v27
	v_fma_f32 v26, v17, v26, -v16
	s_waitcnt lgkmcnt(0)
	v_mul_f32_e32 v27, v19, v25
	v_mul_f32_e32 v16, v18, v25
	v_fmac_f32_e32 v27, v18, v24
	v_fma_f32 v24, v19, v24, -v16
	ds_read2_b64 v[16:19], v13 offset0:106 offset1:204
	s_waitcnt vmcnt(2)
	v_mul_f32_e32 v25, v31, v21
	v_fmac_f32_e32 v25, v30, v20
	v_mul_f32_e32 v20, v31, v20
	v_fma_f32 v30, v30, v21, -v20
	s_waitcnt lgkmcnt(0)
	v_mul_f32_e32 v31, v29, v19
	v_fmac_f32_e32 v31, v28, v18
	v_mul_f32_e32 v18, v29, v18
	v_fma_f32 v28, v28, v19, -v18
	ds_read2_b64 v[18:21], v9 offset0:38 offset1:136
	s_waitcnt vmcnt(1)
	v_mul_f32_e32 v29, v17, v35
	v_fmac_f32_e32 v29, v16, v34
	v_mul_f32_e32 v16, v16, v35
	v_fma_f32 v34, v17, v34, -v16
	s_waitcnt lgkmcnt(0)
	v_mul_f32_e32 v35, v19, v33
	v_mul_f32_e32 v16, v18, v33
	v_fmac_f32_e32 v35, v18, v32
	v_fma_f32 v32, v19, v32, -v16
	ds_read2_b64 v[16:19], v6 offset0:98 offset1:196
	s_waitcnt vmcnt(0)
	v_mul_f32_e32 v33, v39, v21
	v_fmac_f32_e32 v33, v38, v20
	v_mul_f32_e32 v20, v39, v20
	v_fma_f32 v20, v38, v21, -v20
	s_waitcnt lgkmcnt(0)
	v_mul_f32_e32 v21, v37, v19
	v_fmac_f32_e32 v21, v36, v18
	v_mul_f32_e32 v18, v37, v18
	v_add_f32_e32 v37, v35, v49
	v_add_f32_e32 v38, v29, v45
	v_fma_f32 v36, v36, v19, -v18
	v_add_f32_e32 v39, v27, v43
	v_add_f32_e32 v18, v38, v37
	;; [unrolled: 1-line block ×17, first 2 shown]
	v_sub_f32_e32 v23, v33, v23
	v_sub_f32_e32 v25, v25, v31
	v_add_f32_e32 v62, v61, v18
	v_add_f32_e32 v18, v58, v46
	v_sub_f32_e32 v21, v21, v41
	v_sub_f32_e32 v22, v36, v22
	;; [unrolled: 1-line block ×4, first 2 shown]
	v_add_f32_e32 v46, v25, v23
	v_add_f32_e32 v19, v62, v47
	v_sub_f32_e32 v30, v56, v55
	v_sub_f32_e32 v31, v55, v57
	;; [unrolled: 1-line block ×6, first 2 shown]
	v_add_f32_e32 v46, v46, v21
	v_add_f32_e32 v21, v28, v20
	v_sub_f32_e32 v55, v28, v20
	v_sub_f32_e32 v56, v20, v22
	v_lshrrev_b32_e32 v20, 2, v5
	v_sub_f32_e32 v41, v59, v61
	v_mov_b32_e32 v57, v18
	v_mul_u32_u24_e32 v20, 28, v20
	v_sub_f32_e32 v36, v60, v59
	v_sub_f32_e32 v42, v61, v60
	;; [unrolled: 1-line block ×3, first 2 shown]
	v_add_f32_e32 v22, v21, v22
	v_fmac_f32_e32 v57, 0xbf955555, v58
	v_mov_b32_e32 v58, v19
	v_or_b32_e32 v48, v20, v48
	v_mul_f32_e32 v20, 0x3f4a47b2, v31
	v_mul_f32_e32 v21, 0x3f4a47b2, v41
	;; [unrolled: 1-line block ×4, first 2 shown]
	v_fmac_f32_e32 v58, 0xbf955555, v62
	v_fma_f32 v47, v30, s8, -v20
	v_fmac_f32_e32 v20, 0x3d64c772, v33
	v_fma_f32 v55, v36, s8, -v21
	;; [unrolled: 2-line block ×4, first 2 shown]
	v_fmac_f32_e32 v41, 0xbeae86e6, v28
	v_add_f32_e32 v61, v20, v57
	v_add_f32_e32 v62, v21, v58
	v_fmac_f32_e32 v31, 0xbee1c552, v46
	v_fmac_f32_e32 v41, 0xbee1c552, v22
	v_lshlrev_b32_e32 v48, 3, v48
	v_add_f32_e32 v20, v41, v61
	v_sub_f32_e32 v21, v62, v31
	v_add3_u32 v48, 0, v48, v12
	s_barrier
	ds_write2_b64 v48, v[18:19], v[20:21] offset1:4
	v_mul_f32_e32 v20, 0xbf5ff5aa, v23
	v_mul_f32_e32 v18, 0x3d64c772, v33
	;; [unrolled: 1-line block ×3, first 2 shown]
	v_fma_f32 v23, v25, s6, -v20
	v_mul_f32_e32 v20, 0xbf5ff5aa, v56
	v_fma_f32 v18, v30, s5, -v18
	v_fma_f32 v19, v36, s5, -v19
	;; [unrolled: 1-line block ×3, first 2 shown]
	v_add_f32_e32 v28, v18, v57
	v_add_f32_e32 v30, v47, v57
	;; [unrolled: 1-line block ×4, first 2 shown]
	v_fmac_f32_e32 v59, 0xbee1c552, v46
	v_fmac_f32_e32 v23, 0xbee1c552, v46
	;; [unrolled: 1-line block ×4, first 2 shown]
	v_add_f32_e32 v18, v25, v30
	v_sub_f32_e32 v19, v36, v23
	v_sub_f32_e32 v20, v28, v60
	v_add_f32_e32 v21, v59, v33
	ds_write2_b64 v48, v[18:19], v[20:21] offset0:8 offset1:12
	v_add_f32_e32 v18, v60, v28
	v_sub_f32_e32 v19, v33, v59
	v_sub_f32_e32 v20, v30, v25
	v_add_f32_e32 v21, v23, v36
	ds_write2_b64 v48, v[18:19], v[20:21] offset0:16 offset1:20
	v_sub_f32_e32 v18, v61, v41
	v_add_f32_e32 v19, v31, v62
	v_sub_f32_e32 v20, v29, v45
	v_sub_f32_e32 v22, v43, v27
	ds_write_b64 v48, v[18:19] offset:192
	v_sub_f32_e32 v18, v35, v49
	v_sub_f32_e32 v21, v34, v40
	;; [unrolled: 1-line block ×3, first 2 shown]
	v_add_f32_e32 v30, v22, v20
	v_sub_f32_e32 v19, v32, v44
	v_sub_f32_e32 v31, v22, v20
	;; [unrolled: 1-line block ×4, first 2 shown]
	v_add_f32_e32 v30, v30, v18
	v_add_f32_e32 v18, v23, v21
	;; [unrolled: 1-line block ×3, first 2 shown]
	v_lshrrev_b32_e32 v18, 2, v14
	v_add_f32_e32 v16, v50, v16
	v_add_f32_e32 v17, v54, v17
	v_sub_f32_e32 v25, v37, v39
	v_sub_f32_e32 v28, v51, v53
	;; [unrolled: 1-line block ×3, first 2 shown]
	v_mul_u32_u24_e32 v18, 28, v18
	v_sub_f32_e32 v24, v38, v37
	v_sub_f32_e32 v26, v39, v38
	;; [unrolled: 1-line block ×6, first 2 shown]
	v_mov_b32_e32 v34, v16
	v_mov_b32_e32 v35, v17
	v_or_b32_e32 v15, v18, v15
	v_mul_f32_e32 v18, 0x3f4a47b2, v25
	v_mul_f32_e32 v19, 0x3f4a47b2, v28
	;; [unrolled: 1-line block ×4, first 2 shown]
	v_fmac_f32_e32 v34, 0xbf955555, v50
	v_fmac_f32_e32 v35, 0xbf955555, v54
	v_fma_f32 v31, v24, s8, -v18
	v_fmac_f32_e32 v18, 0x3d64c772, v26
	v_fma_f32 v32, v27, s8, -v19
	;; [unrolled: 2-line block ×4, first 2 shown]
	v_fmac_f32_e32 v28, 0xbeae86e6, v23
	v_add_f32_e32 v38, v18, v34
	v_add_f32_e32 v39, v19, v35
	v_fmac_f32_e32 v25, 0xbee1c552, v30
	v_fmac_f32_e32 v28, 0xbee1c552, v33
	v_lshlrev_b32_e32 v15, 3, v15
	v_add_f32_e32 v18, v28, v38
	v_sub_f32_e32 v19, v39, v25
	v_add3_u32 v40, 0, v15, v12
	ds_write2_b64 v40, v[16:17], v[18:19] offset1:4
	v_mul_f32_e32 v17, 0xbf5ff5aa, v20
	v_mul_f32_e32 v15, 0x3d64c772, v26
	v_mul_f32_e32 v16, 0x3d64c772, v29
	v_fma_f32 v19, v22, s6, -v17
	v_mul_f32_e32 v17, 0xbf5ff5aa, v21
	v_fma_f32 v15, v24, s5, -v15
	v_fma_f32 v16, v27, s5, -v16
	v_fma_f32 v20, v23, s6, -v17
	v_add_f32_e32 v21, v15, v34
	v_add_f32_e32 v22, v31, v34
	;; [unrolled: 1-line block ×4, first 2 shown]
	v_fmac_f32_e32 v36, 0xbee1c552, v30
	v_fmac_f32_e32 v19, 0xbee1c552, v30
	;; [unrolled: 1-line block ×4, first 2 shown]
	v_add_f32_e32 v15, v20, v22
	v_sub_f32_e32 v16, v24, v19
	v_sub_f32_e32 v17, v21, v37
	v_add_f32_e32 v18, v36, v23
	ds_write2_b64 v40, v[15:16], v[17:18] offset0:8 offset1:12
	v_add_f32_e32 v15, v37, v21
	v_sub_f32_e32 v16, v23, v36
	v_sub_f32_e32 v17, v22, v20
	v_add_f32_e32 v18, v19, v24
	v_sub_f32_e32 v19, v38, v28
	v_add_f32_e32 v20, v25, v39
	ds_write2_b64 v40, v[15:16], v[17:18] offset0:16 offset1:20
	ds_write_b64 v40, v[19:20] offset:192
	v_lshrrev_b16_e32 v15, 2, v14
	v_and_b32_e32 v15, 63, v15
	v_mul_lo_u16_e32 v15, 37, v15
	v_lshrrev_b16_e32 v46, 8, v15
	v_mul_lo_u16_e32 v15, 28, v46
	v_mov_b32_e32 v18, 6
	v_sub_u16_e32 v47, v14, v15
	v_mul_u32_u24_sdwa v14, v47, v18 dst_sel:DWORD dst_unused:UNUSED_PAD src0_sel:BYTE_0 src1_sel:DWORD
	v_lshlrev_b32_e32 v38, 3, v14
	s_waitcnt lgkmcnt(0)
	s_barrier
	global_load_dwordx4 v[14:17], v38, s[12:13] offset:240
	v_lshrrev_b16_e32 v19, 2, v5
	v_and_b32_e32 v19, 63, v19
	v_mul_lo_u16_e32 v19, 37, v19
	v_lshrrev_b16_e32 v48, 8, v19
	v_mul_lo_u16_e32 v19, 28, v48
	v_sub_u16_e32 v49, v5, v19
	v_mul_u32_u24_sdwa v18, v49, v18 dst_sel:DWORD dst_unused:UNUSED_PAD src0_sel:BYTE_0 src1_sel:DWORD
	v_lshlrev_b32_e32 v39, 3, v18
	global_load_dwordx4 v[18:21], v39, s[12:13] offset:240
	global_load_dwordx4 v[22:25], v38, s[12:13] offset:224
	;; [unrolled: 1-line block ×5, first 2 shown]
	ds_read_b64 v[42:43], v6 offset:10192
	ds_read2_b64 v[38:41], v8 offset0:54 offset1:152
	ds_read_b64 v[44:45], v11
	s_waitcnt vmcnt(5) lgkmcnt(2)
	v_mul_f32_e32 v50, v43, v17
	v_mul_f32_e32 v17, v42, v17
	v_fmac_f32_e32 v50, v42, v16
	v_fma_f32 v42, v43, v16, -v17
	s_waitcnt lgkmcnt(1)
	v_mul_f32_e32 v43, v39, v15
	v_mul_f32_e32 v15, v38, v15
	v_fmac_f32_e32 v43, v38, v14
	v_fma_f32 v38, v39, v14, -v15
	ds_read2_b64 v[14:17], v7 offset0:114 offset1:212
	s_waitcnt vmcnt(4)
	v_mul_f32_e32 v39, v41, v21
	v_mul_f32_e32 v21, v40, v21
	v_fmac_f32_e32 v39, v40, v20
	v_fma_f32 v20, v41, v20, -v21
	s_waitcnt lgkmcnt(0)
	v_mul_f32_e32 v21, v19, v17
	v_fmac_f32_e32 v21, v18, v16
	v_mul_f32_e32 v16, v19, v16
	v_fma_f32 v40, v18, v17, -v16
	ds_read2_b64 v[16:19], v10 offset0:46 offset1:144
	s_waitcnt vmcnt(3)
	v_mul_f32_e32 v41, v15, v25
	v_fmac_f32_e32 v41, v14, v24
	v_mul_f32_e32 v14, v14, v25
	v_fma_f32 v24, v15, v24, -v14
	s_waitcnt lgkmcnt(0)
	v_mul_f32_e32 v25, v17, v23
	v_mul_f32_e32 v14, v16, v23
	v_fmac_f32_e32 v25, v16, v22
	v_fma_f32 v22, v17, v22, -v14
	ds_read2_b64 v[14:17], v13 offset0:106 offset1:204
	s_waitcnt vmcnt(2)
	v_mul_f32_e32 v23, v29, v19
	v_fmac_f32_e32 v23, v28, v18
	v_mul_f32_e32 v18, v29, v18
	v_fma_f32 v28, v28, v19, -v18
	s_waitcnt lgkmcnt(0)
	v_mul_f32_e32 v29, v27, v17
	v_fmac_f32_e32 v29, v26, v16
	v_mul_f32_e32 v16, v27, v16
	v_fma_f32 v26, v26, v17, -v16
	ds_read2_b64 v[16:19], v9 offset0:38 offset1:136
	s_waitcnt vmcnt(1)
	v_mul_f32_e32 v27, v15, v33
	v_fmac_f32_e32 v27, v14, v32
	v_mul_f32_e32 v14, v14, v33
	v_fma_f32 v32, v15, v32, -v14
	s_waitcnt lgkmcnt(0)
	v_mul_f32_e32 v33, v17, v31
	v_mul_f32_e32 v14, v16, v31
	v_fmac_f32_e32 v33, v16, v30
	v_fma_f32 v30, v17, v30, -v14
	ds_read2_b64 v[14:17], v6 offset0:98 offset1:196
	s_waitcnt vmcnt(0)
	v_mul_f32_e32 v31, v37, v19
	v_fmac_f32_e32 v31, v36, v18
	v_mul_f32_e32 v18, v37, v18
	v_fma_f32 v18, v36, v19, -v18
	s_waitcnt lgkmcnt(0)
	v_mul_f32_e32 v19, v35, v17
	v_fmac_f32_e32 v19, v34, v16
	v_mul_f32_e32 v16, v35, v16
	v_add_f32_e32 v35, v33, v50
	v_add_f32_e32 v36, v27, v43
	v_fma_f32 v34, v34, v17, -v16
	v_add_f32_e32 v37, v25, v41
	v_add_f32_e32 v16, v36, v35
	;; [unrolled: 1-line block ×17, first 2 shown]
	v_sub_f32_e32 v21, v31, v21
	v_sub_f32_e32 v23, v23, v29
	v_add_f32_e32 v63, v62, v16
	v_add_f32_e32 v16, v59, v44
	v_sub_f32_e32 v19, v19, v39
	v_sub_f32_e32 v20, v34, v20
	;; [unrolled: 1-line block ×4, first 2 shown]
	v_add_f32_e32 v44, v23, v21
	v_add_f32_e32 v17, v63, v45
	v_sub_f32_e32 v28, v57, v56
	v_sub_f32_e32 v29, v56, v58
	;; [unrolled: 1-line block ×6, first 2 shown]
	v_add_f32_e32 v44, v44, v19
	v_add_f32_e32 v19, v26, v18
	v_sub_f32_e32 v56, v26, v18
	v_sub_f32_e32 v57, v18, v20
	v_mad_u32_u24 v18, v48, s9, 0
	v_mov_b32_e32 v48, 3
	v_sub_f32_e32 v39, v60, v62
	v_sub_f32_e32 v26, v20, v26
	v_add_f32_e32 v20, v19, v20
	v_mov_b32_e32 v58, v16
	v_lshlrev_b32_sdwa v19, v48, v49 dst_sel:DWORD dst_unused:UNUSED_PAD src0_sel:DWORD src1_sel:BYTE_0
	v_sub_f32_e32 v34, v61, v60
	v_sub_f32_e32 v40, v62, v61
	v_fmac_f32_e32 v58, 0xbf955555, v59
	v_mov_b32_e32 v59, v17
	v_add3_u32 v49, v18, v19, v12
	v_mul_f32_e32 v18, 0x3f4a47b2, v29
	v_mul_f32_e32 v19, 0x3f4a47b2, v39
	;; [unrolled: 1-line block ×4, first 2 shown]
	v_fmac_f32_e32 v59, 0xbf955555, v63
	v_fma_f32 v45, v28, s8, -v18
	v_fmac_f32_e32 v18, 0x3d64c772, v31
	v_fma_f32 v56, v34, s8, -v19
	;; [unrolled: 2-line block ×4, first 2 shown]
	v_fmac_f32_e32 v39, 0xbeae86e6, v26
	v_add_f32_e32 v62, v18, v58
	v_add_f32_e32 v63, v19, v59
	v_fmac_f32_e32 v29, 0xbee1c552, v44
	v_fmac_f32_e32 v39, 0xbee1c552, v20
	v_add_f32_e32 v18, v39, v62
	v_sub_f32_e32 v19, v63, v29
	s_barrier
	ds_write2_b64 v49, v[16:17], v[18:19] offset1:28
	v_mul_f32_e32 v18, 0xbf5ff5aa, v21
	v_mul_f32_e32 v16, 0x3d64c772, v31
	;; [unrolled: 1-line block ×3, first 2 shown]
	v_fma_f32 v21, v23, s6, -v18
	v_mul_f32_e32 v18, 0xbf5ff5aa, v57
	v_fma_f32 v16, v28, s5, -v16
	v_fma_f32 v17, v34, s5, -v17
	v_fma_f32 v23, v26, s6, -v18
	v_add_f32_e32 v26, v16, v58
	v_add_f32_e32 v28, v45, v58
	;; [unrolled: 1-line block ×4, first 2 shown]
	v_fmac_f32_e32 v60, 0xbee1c552, v44
	v_fmac_f32_e32 v21, 0xbee1c552, v44
	;; [unrolled: 1-line block ×4, first 2 shown]
	v_add_f32_e32 v16, v23, v28
	v_sub_f32_e32 v17, v34, v21
	v_sub_f32_e32 v18, v26, v61
	v_add_f32_e32 v19, v60, v31
	ds_write2_b64 v49, v[16:17], v[18:19] offset0:56 offset1:84
	v_add_f32_e32 v16, v61, v26
	v_sub_f32_e32 v17, v31, v60
	v_sub_f32_e32 v18, v28, v23
	v_add_f32_e32 v19, v21, v34
	ds_write2_b64 v49, v[16:17], v[18:19] offset0:112 offset1:140
	v_sub_f32_e32 v16, v62, v39
	v_add_f32_e32 v17, v29, v63
	ds_write_b64 v49, v[16:17] offset:1344
	v_lshlrev_b32_sdwa v16, v48, v47 dst_sel:DWORD dst_unused:UNUSED_PAD src0_sel:DWORD src1_sel:BYTE_0
	v_mad_u32_u24 v17, v46, s9, 0
	v_sub_f32_e32 v18, v27, v43
	v_sub_f32_e32 v20, v41, v25
	v_add3_u32 v12, v17, v16, v12
	v_sub_f32_e32 v16, v33, v50
	v_sub_f32_e32 v19, v32, v38
	;; [unrolled: 1-line block ×3, first 2 shown]
	v_add_f32_e32 v28, v20, v18
	v_add_f32_e32 v14, v51, v14
	;; [unrolled: 1-line block ×3, first 2 shown]
	v_sub_f32_e32 v17, v30, v42
	v_sub_f32_e32 v23, v35, v37
	;; [unrolled: 1-line block ×6, first 2 shown]
	v_add_f32_e32 v28, v28, v16
	v_add_f32_e32 v16, v21, v19
	v_sub_f32_e32 v30, v21, v19
	v_sub_f32_e32 v22, v36, v35
	;; [unrolled: 1-line block ×7, first 2 shown]
	v_add_f32_e32 v31, v16, v17
	v_mov_b32_e32 v32, v14
	v_mov_b32_e32 v33, v15
	v_mul_f32_e32 v16, 0x3f4a47b2, v23
	v_mul_f32_e32 v17, 0x3f4a47b2, v26
	;; [unrolled: 1-line block ×4, first 2 shown]
	v_fmac_f32_e32 v32, 0xbf955555, v51
	v_fmac_f32_e32 v33, 0xbf955555, v55
	v_fma_f32 v29, v22, s8, -v16
	v_fmac_f32_e32 v16, 0x3d64c772, v24
	v_fma_f32 v30, v25, s8, -v17
	;; [unrolled: 2-line block ×4, first 2 shown]
	v_fmac_f32_e32 v26, 0xbeae86e6, v21
	v_add_f32_e32 v36, v16, v32
	v_add_f32_e32 v37, v17, v33
	v_fmac_f32_e32 v23, 0xbee1c552, v28
	v_fmac_f32_e32 v26, 0xbee1c552, v31
	v_add_f32_e32 v16, v26, v36
	v_sub_f32_e32 v17, v37, v23
	ds_write2_b64 v12, v[14:15], v[16:17] offset1:28
	v_mul_f32_e32 v14, 0x3d64c772, v24
	v_mul_f32_e32 v18, 0xbf5ff5aa, v18
	v_fma_f32 v14, v22, s5, -v14
	v_mul_f32_e32 v15, 0x3d64c772, v27
	v_fma_f32 v22, v20, s6, -v18
	;; [unrolled: 2-line block ×3, first 2 shown]
	v_fma_f32 v20, v21, s6, -v18
	v_add_f32_e32 v16, v14, v32
	v_add_f32_e32 v17, v15, v33
	v_fmac_f32_e32 v34, 0xbee1c552, v28
	v_fmac_f32_e32 v35, 0xbee1c552, v31
	v_add_f32_e32 v21, v29, v32
	v_add_f32_e32 v24, v30, v33
	v_fmac_f32_e32 v22, 0xbee1c552, v28
	v_fmac_f32_e32 v20, 0xbee1c552, v31
	v_sub_f32_e32 v14, v16, v35
	v_add_f32_e32 v15, v34, v17
	v_add_f32_e32 v18, v20, v21
	v_sub_f32_e32 v19, v24, v22
	v_add_f32_e32 v16, v35, v16
	v_sub_f32_e32 v17, v17, v34
	v_sub_f32_e32 v20, v21, v20
	v_add_f32_e32 v21, v22, v24
	v_sub_f32_e32 v22, v36, v26
	v_add_f32_e32 v23, v23, v37
	ds_write2_b64 v12, v[18:19], v[14:15] offset0:56 offset1:84
	ds_write2_b64 v12, v[16:17], v[20:21] offset0:112 offset1:140
	ds_write_b64 v12, v[22:23] offset:1344
	v_mul_u32_u24_e32 v12, 6, v5
	v_lshlrev_b32_e32 v12, 3, v12
	v_mov_b32_e32 v14, s13
	v_add_co_u32_e32 v32, vcc, s12, v12
	v_addc_co_u32_e32 v33, vcc, 0, v14, vcc
	s_movk_i32 s9, 0x1870
	v_add_co_u32_e32 v30, vcc, s9, v32
	v_addc_co_u32_e32 v31, vcc, 0, v33, vcc
	s_waitcnt lgkmcnt(0)
	s_barrier
	global_load_dwordx4 v[14:17], v[30:31], off offset:32
	global_load_dwordx4 v[18:21], v12, s[12:13] offset:1584
	global_load_dwordx4 v[22:25], v[30:31], off offset:16
	global_load_dwordx4 v[26:29], v12, s[12:13] offset:1568
	v_add_co_u32_e32 v38, vcc, s4, v32
	v_addc_co_u32_e32 v39, vcc, 0, v33, vcc
	global_load_dwordx4 v[30:33], v[38:39], off offset:2160
	global_load_dwordx4 v[34:37], v12, s[12:13] offset:1552
	ds_read_b64 v[42:43], v6 offset:10192
	ds_read2_b64 v[38:41], v8 offset0:54 offset1:152
	ds_read_b64 v[44:45], v11
	v_add_u32_e32 v58, 0x400, v6
	s_waitcnt vmcnt(5) lgkmcnt(2)
	v_mul_f32_e32 v46, v43, v17
	v_mul_f32_e32 v11, v42, v17
	v_fmac_f32_e32 v46, v42, v16
	v_fma_f32 v42, v43, v16, -v11
	s_waitcnt lgkmcnt(1)
	v_mul_f32_e32 v43, v39, v15
	v_mul_f32_e32 v11, v38, v15
	v_fmac_f32_e32 v43, v38, v14
	v_fma_f32 v38, v39, v14, -v11
	ds_read2_b64 v[14:17], v7 offset0:114 offset1:212
	s_waitcnt vmcnt(4)
	v_mul_f32_e32 v39, v41, v21
	v_mul_f32_e32 v11, v40, v21
	v_fmac_f32_e32 v39, v40, v20
	v_fma_f32 v20, v41, v20, -v11
	s_waitcnt lgkmcnt(0)
	v_mul_f32_e32 v21, v19, v17
	v_mul_f32_e32 v11, v19, v16
	v_fmac_f32_e32 v21, v18, v16
	v_fma_f32 v40, v18, v17, -v11
	ds_read2_b64 v[16:19], v10 offset0:46 offset1:144
	s_waitcnt vmcnt(3)
	;; [unrolled: 11-line block ×3, first 2 shown]
	v_mul_f32_e32 v17, v29, v19
	v_mul_f32_e32 v14, v29, v18
	v_fmac_f32_e32 v17, v28, v18
	v_fma_f32 v18, v28, v19, -v14
	s_waitcnt lgkmcnt(0)
	v_mul_f32_e32 v19, v27, v13
	v_fmac_f32_e32 v19, v26, v12
	v_mul_f32_e32 v12, v27, v12
	v_fma_f32 v22, v26, v13, -v12
	ds_read2_b64 v[12:15], v9 offset0:38 offset1:136
	s_waitcnt vmcnt(1)
	v_mul_f32_e32 v23, v11, v33
	v_fmac_f32_e32 v23, v10, v32
	v_mul_f32_e32 v10, v10, v33
	v_fma_f32 v26, v11, v32, -v10
	s_waitcnt lgkmcnt(0)
	v_mul_f32_e32 v27, v13, v31
	v_mul_f32_e32 v10, v12, v31
	v_fmac_f32_e32 v27, v12, v30
	v_fma_f32 v28, v13, v30, -v10
	ds_read2_b64 v[10:13], v6 offset0:98 offset1:196
	s_waitcnt vmcnt(0)
	v_mul_f32_e32 v29, v37, v15
	v_fmac_f32_e32 v29, v36, v14
	v_mul_f32_e32 v14, v37, v14
	v_fma_f32 v14, v36, v15, -v14
	s_waitcnt lgkmcnt(0)
	v_mul_f32_e32 v15, v35, v13
	v_fmac_f32_e32 v15, v34, v12
	v_mul_f32_e32 v12, v35, v12
	v_add_f32_e32 v31, v27, v46
	v_add_f32_e32 v32, v23, v43
	v_fma_f32 v30, v34, v13, -v12
	v_add_f32_e32 v33, v25, v41
	v_add_f32_e32 v12, v32, v31
	;; [unrolled: 1-line block ×17, first 2 shown]
	v_sub_f32_e32 v21, v29, v21
	v_sub_f32_e32 v17, v17, v19
	v_add_f32_e32 v55, v54, v12
	v_add_f32_e32 v12, v51, v44
	v_sub_f32_e32 v15, v15, v39
	v_sub_f32_e32 v14, v14, v40
	;; [unrolled: 1-line block ×3, first 2 shown]
	v_add_f32_e32 v44, v17, v21
	v_add_f32_e32 v13, v55, v45
	v_sub_f32_e32 v20, v30, v20
	v_sub_f32_e32 v19, v49, v48
	;; [unrolled: 1-line block ×6, first 2 shown]
	v_add_f32_e32 v44, v44, v15
	v_add_f32_e32 v15, v18, v14
	v_sub_f32_e32 v23, v23, v43
	v_sub_f32_e32 v25, v41, v25
	v_add_f32_e32 v10, v34, v10
	v_sub_f32_e32 v29, v50, v49
	v_sub_f32_e32 v17, v18, v14
	;; [unrolled: 1-line block ×4, first 2 shown]
	v_add_f32_e32 v20, v15, v20
	v_sub_f32_e32 v14, v27, v46
	v_sub_f32_e32 v15, v28, v42
	;; [unrolled: 1-line block ×9, first 2 shown]
	v_add_f32_e32 v35, v25, v23
	v_add_f32_e32 v11, v47, v11
	v_sub_f32_e32 v39, v52, v54
	v_mov_b32_e32 v50, v12
	v_sub_f32_e32 v33, v37, v36
	v_sub_f32_e32 v36, v25, v23
	v_sub_f32_e32 v25, v14, v25
	v_sub_f32_e32 v23, v23, v14
	v_add_f32_e32 v35, v35, v14
	v_add_f32_e32 v14, v16, v26
	v_sub_f32_e32 v37, v16, v26
	v_mov_b32_e32 v42, v10
	v_sub_f32_e32 v30, v53, v52
	v_sub_f32_e32 v40, v54, v53
	v_fmac_f32_e32 v50, 0xbf955555, v51
	v_mov_b32_e32 v51, v13
	v_sub_f32_e32 v38, v15, v16
	v_sub_f32_e32 v26, v26, v15
	v_add_f32_e32 v41, v14, v15
	v_fmac_f32_e32 v42, 0xbf955555, v34
	v_mov_b32_e32 v34, v11
	v_mul_f32_e32 v14, 0x3f4a47b2, v22
	v_mul_f32_e32 v15, 0x3f4a47b2, v39
	;; [unrolled: 1-line block ×8, first 2 shown]
	v_fmac_f32_e32 v51, 0xbf955555, v55
	v_fmac_f32_e32 v34, 0xbf955555, v47
	v_fma_f32 v43, v19, s8, -v14
	v_fmac_f32_e32 v14, 0x3d64c772, v29
	v_fma_f32 v45, v30, s8, -v15
	;; [unrolled: 2-line block ×8, first 2 shown]
	v_fmac_f32_e32 v32, 0xbeae86e6, v38
	v_add_f32_e32 v52, v14, v50
	v_add_f32_e32 v53, v15, v51
	v_fmac_f32_e32 v22, 0xbee1c552, v44
	v_fmac_f32_e32 v39, 0xbee1c552, v20
	v_add_f32_e32 v56, v16, v42
	v_add_f32_e32 v57, v17, v34
	v_fmac_f32_e32 v27, 0xbee1c552, v35
	v_fmac_f32_e32 v32, 0xbee1c552, v41
	v_add_f32_e32 v14, v39, v52
	v_sub_f32_e32 v15, v53, v22
	v_add_f32_e32 v16, v32, v56
	v_sub_f32_e32 v17, v57, v27
	s_barrier
	ds_write2_b64 v58, v[14:15], v[16:17] offset0:68 offset1:166
	v_mul_f32_e32 v14, 0xbf5ff5aa, v21
	v_fma_f32 v21, v48, s6, -v14
	v_mul_f32_e32 v14, 0xbf5ff5aa, v49
	v_fma_f32 v18, v18, s6, -v14
	;; [unrolled: 2-line block ×4, first 2 shown]
	v_add_f32_e32 v26, v43, v50
	v_add_f32_e32 v38, v45, v51
	v_fmac_f32_e32 v21, 0xbee1c552, v44
	v_fmac_f32_e32 v18, 0xbee1c552, v20
	v_add_f32_e32 v36, v36, v42
	v_add_f32_e32 v37, v37, v34
	v_fmac_f32_e32 v23, 0xbee1c552, v35
	v_fmac_f32_e32 v25, 0xbee1c552, v41
	v_add_f32_e32 v14, v18, v26
	v_sub_f32_e32 v15, v38, v21
	v_add_f32_e32 v16, v25, v36
	v_sub_f32_e32 v17, v37, v23
	ds_write2_b64 v9, v[14:15], v[16:17] offset0:136 offset1:234
	v_mul_f32_e32 v14, 0x3d64c772, v40
	v_mul_f32_e32 v9, 0x3d64c772, v29
	v_fma_f32 v14, v30, s5, -v14
	v_fma_f32 v9, v19, s5, -v9
	v_add_f32_e32 v19, v14, v51
	v_mul_f32_e32 v14, 0x3d64c772, v28
	v_mul_f32_e32 v15, 0x3d64c772, v33
	v_fma_f32 v14, v24, s5, -v14
	v_fma_f32 v15, v31, s5, -v15
	v_add_f32_e32 v9, v9, v50
	v_fmac_f32_e32 v46, 0xbee1c552, v44
	v_fmac_f32_e32 v47, 0xbee1c552, v20
	v_add_f32_e32 v20, v14, v42
	v_add_f32_e32 v24, v15, v34
	v_fmac_f32_e32 v54, 0xbee1c552, v35
	v_fmac_f32_e32 v55, 0xbee1c552, v41
	v_sub_f32_e32 v14, v9, v47
	v_add_f32_e32 v15, v46, v19
	v_sub_f32_e32 v16, v20, v55
	v_add_f32_e32 v17, v54, v24
	v_add_u32_e32 v28, 0x1000, v6
	ds_write2_b64 v28, v[14:15], v[16:17] offset0:76 offset1:174
	ds_write2_b64 v6, v[12:13], v[10:11] offset1:98
	v_add_f32_e32 v9, v47, v9
	v_sub_f32_e32 v10, v19, v46
	v_sub_f32_e32 v11, v26, v18
	v_add_f32_e32 v12, v21, v38
	v_add_f32_e32 v15, v55, v20
	v_sub_f32_e32 v16, v24, v54
	v_sub_f32_e32 v17, v36, v25
	v_add_f32_e32 v18, v23, v37
	v_add_u32_e32 v6, 0x1c00, v6
	v_sub_f32_e32 v13, v52, v39
	v_add_f32_e32 v14, v22, v53
	v_sub_f32_e32 v19, v56, v32
	v_add_f32_e32 v20, v27, v57
	ds_write2_b64 v7, v[9:10], v[15:16] offset0:16 offset1:114
	ds_write2_b64 v6, v[11:12], v[17:18] offset0:84 offset1:182
	;; [unrolled: 1-line block ×3, first 2 shown]
	s_waitcnt lgkmcnt(0)
	s_barrier
	s_and_saveexec_b64 s[4:5], s[0:1]
	s_cbranch_execz .LBB0_21
; %bb.20:
	v_mul_lo_u32 v6, s3, v3
	v_mul_lo_u32 v7, s2, v4
	v_mad_u64_u32 v[3:4], s[0:1], s2, v3, 0
	v_lshl_add_u32 v11, v5, 3, v0
	v_mov_b32_e32 v0, s11
	v_add3_u32 v4, v4, v7, v6
	v_lshlrev_b64 v[3:4], 3, v[3:4]
	v_mov_b32_e32 v6, 0
	v_add_co_u32_e32 v3, vcc, s10, v3
	v_addc_co_u32_e32 v4, vcc, v0, v4, vcc
	v_lshlrev_b64 v[0:1], 3, v[1:2]
	ds_read2_b64 v[7:10], v11 offset1:98
	v_add_co_u32_e32 v12, vcc, v3, v0
	v_addc_co_u32_e32 v4, vcc, v4, v1, vcc
	v_lshlrev_b64 v[0:1], 3, v[5:6]
	v_add_co_u32_e32 v0, vcc, v12, v0
	v_addc_co_u32_e32 v1, vcc, v4, v1, vcc
	s_waitcnt lgkmcnt(0)
	global_store_dwordx2 v[0:1], v[7:8], off
	v_add_u32_e32 v0, 0x62, v5
	v_mov_b32_e32 v1, v6
	v_lshlrev_b64 v[0:1], 3, v[0:1]
	v_add_u32_e32 v7, 0xc4, v5
	v_add_co_u32_e32 v0, vcc, v12, v0
	v_addc_co_u32_e32 v1, vcc, v4, v1, vcc
	global_store_dwordx2 v[0:1], v[9:10], off
	v_add_u32_e32 v0, 0x400, v11
	v_mov_b32_e32 v8, v6
	ds_read2_b64 v[0:3], v0 offset0:68 offset1:166
	v_lshlrev_b64 v[7:8], 3, v[7:8]
	v_add_co_u32_e32 v7, vcc, v12, v7
	v_addc_co_u32_e32 v8, vcc, v4, v8, vcc
	s_waitcnt lgkmcnt(0)
	global_store_dwordx2 v[7:8], v[0:1], off
	v_add_u32_e32 v0, 0x126, v5
	v_mov_b32_e32 v1, v6
	v_lshlrev_b64 v[0:1], 3, v[0:1]
	v_add_u32_e32 v7, 0x188, v5
	v_add_co_u32_e32 v0, vcc, v12, v0
	v_addc_co_u32_e32 v1, vcc, v4, v1, vcc
	global_store_dwordx2 v[0:1], v[2:3], off
	v_add_u32_e32 v0, 0x800, v11
	v_mov_b32_e32 v8, v6
	ds_read2_b64 v[0:3], v0 offset0:136 offset1:234
	;; [unrolled: 15-line block ×6, first 2 shown]
	v_lshlrev_b64 v[7:8], 3, v[7:8]
	v_add_u32_e32 v5, 0x4fa, v5
	v_add_co_u32_e32 v7, vcc, v12, v7
	v_addc_co_u32_e32 v8, vcc, v4, v8, vcc
	s_waitcnt lgkmcnt(0)
	global_store_dwordx2 v[7:8], v[0:1], off
	v_lshlrev_b64 v[0:1], 3, v[5:6]
	v_add_co_u32_e32 v0, vcc, v12, v0
	v_addc_co_u32_e32 v1, vcc, v4, v1, vcc
	global_store_dwordx2 v[0:1], v[2:3], off
.LBB0_21:
	s_endpgm
	.section	.rodata,"a",@progbits
	.p2align	6, 0x0
	.amdhsa_kernel fft_rtc_back_len1372_factors_2_2_7_7_7_wgs_196_tpt_98_halfLds_sp_op_CI_CI_unitstride_sbrr_C2R_dirReg
		.amdhsa_group_segment_fixed_size 0
		.amdhsa_private_segment_fixed_size 0
		.amdhsa_kernarg_size 104
		.amdhsa_user_sgpr_count 6
		.amdhsa_user_sgpr_private_segment_buffer 1
		.amdhsa_user_sgpr_dispatch_ptr 0
		.amdhsa_user_sgpr_queue_ptr 0
		.amdhsa_user_sgpr_kernarg_segment_ptr 1
		.amdhsa_user_sgpr_dispatch_id 0
		.amdhsa_user_sgpr_flat_scratch_init 0
		.amdhsa_user_sgpr_private_segment_size 0
		.amdhsa_uses_dynamic_stack 0
		.amdhsa_system_sgpr_private_segment_wavefront_offset 0
		.amdhsa_system_sgpr_workgroup_id_x 1
		.amdhsa_system_sgpr_workgroup_id_y 0
		.amdhsa_system_sgpr_workgroup_id_z 0
		.amdhsa_system_sgpr_workgroup_info 0
		.amdhsa_system_vgpr_workitem_id 0
		.amdhsa_next_free_vgpr 64
		.amdhsa_next_free_sgpr 28
		.amdhsa_reserve_vcc 1
		.amdhsa_reserve_flat_scratch 0
		.amdhsa_float_round_mode_32 0
		.amdhsa_float_round_mode_16_64 0
		.amdhsa_float_denorm_mode_32 3
		.amdhsa_float_denorm_mode_16_64 3
		.amdhsa_dx10_clamp 1
		.amdhsa_ieee_mode 1
		.amdhsa_fp16_overflow 0
		.amdhsa_exception_fp_ieee_invalid_op 0
		.amdhsa_exception_fp_denorm_src 0
		.amdhsa_exception_fp_ieee_div_zero 0
		.amdhsa_exception_fp_ieee_overflow 0
		.amdhsa_exception_fp_ieee_underflow 0
		.amdhsa_exception_fp_ieee_inexact 0
		.amdhsa_exception_int_div_zero 0
	.end_amdhsa_kernel
	.text
.Lfunc_end0:
	.size	fft_rtc_back_len1372_factors_2_2_7_7_7_wgs_196_tpt_98_halfLds_sp_op_CI_CI_unitstride_sbrr_C2R_dirReg, .Lfunc_end0-fft_rtc_back_len1372_factors_2_2_7_7_7_wgs_196_tpt_98_halfLds_sp_op_CI_CI_unitstride_sbrr_C2R_dirReg
                                        ; -- End function
	.section	.AMDGPU.csdata,"",@progbits
; Kernel info:
; codeLenInByte = 8888
; NumSgprs: 32
; NumVgprs: 64
; ScratchSize: 0
; MemoryBound: 0
; FloatMode: 240
; IeeeMode: 1
; LDSByteSize: 0 bytes/workgroup (compile time only)
; SGPRBlocks: 3
; VGPRBlocks: 15
; NumSGPRsForWavesPerEU: 32
; NumVGPRsForWavesPerEU: 64
; Occupancy: 4
; WaveLimiterHint : 1
; COMPUTE_PGM_RSRC2:SCRATCH_EN: 0
; COMPUTE_PGM_RSRC2:USER_SGPR: 6
; COMPUTE_PGM_RSRC2:TRAP_HANDLER: 0
; COMPUTE_PGM_RSRC2:TGID_X_EN: 1
; COMPUTE_PGM_RSRC2:TGID_Y_EN: 0
; COMPUTE_PGM_RSRC2:TGID_Z_EN: 0
; COMPUTE_PGM_RSRC2:TIDIG_COMP_CNT: 0
	.type	__hip_cuid_b0cf64d5b5c08cca,@object ; @__hip_cuid_b0cf64d5b5c08cca
	.section	.bss,"aw",@nobits
	.globl	__hip_cuid_b0cf64d5b5c08cca
__hip_cuid_b0cf64d5b5c08cca:
	.byte	0                               ; 0x0
	.size	__hip_cuid_b0cf64d5b5c08cca, 1

	.ident	"AMD clang version 19.0.0git (https://github.com/RadeonOpenCompute/llvm-project roc-6.4.0 25133 c7fe45cf4b819c5991fe208aaa96edf142730f1d)"
	.section	".note.GNU-stack","",@progbits
	.addrsig
	.addrsig_sym __hip_cuid_b0cf64d5b5c08cca
	.amdgpu_metadata
---
amdhsa.kernels:
  - .args:
      - .actual_access:  read_only
        .address_space:  global
        .offset:         0
        .size:           8
        .value_kind:     global_buffer
      - .offset:         8
        .size:           8
        .value_kind:     by_value
      - .actual_access:  read_only
        .address_space:  global
        .offset:         16
        .size:           8
        .value_kind:     global_buffer
      - .actual_access:  read_only
        .address_space:  global
        .offset:         24
        .size:           8
        .value_kind:     global_buffer
      - .actual_access:  read_only
        .address_space:  global
        .offset:         32
        .size:           8
        .value_kind:     global_buffer
      - .offset:         40
        .size:           8
        .value_kind:     by_value
      - .actual_access:  read_only
        .address_space:  global
        .offset:         48
        .size:           8
        .value_kind:     global_buffer
      - .actual_access:  read_only
        .address_space:  global
        .offset:         56
        .size:           8
        .value_kind:     global_buffer
      - .offset:         64
        .size:           4
        .value_kind:     by_value
      - .actual_access:  read_only
        .address_space:  global
        .offset:         72
        .size:           8
        .value_kind:     global_buffer
      - .actual_access:  read_only
        .address_space:  global
        .offset:         80
        .size:           8
        .value_kind:     global_buffer
      - .actual_access:  read_only
        .address_space:  global
        .offset:         88
        .size:           8
        .value_kind:     global_buffer
      - .actual_access:  write_only
        .address_space:  global
        .offset:         96
        .size:           8
        .value_kind:     global_buffer
    .group_segment_fixed_size: 0
    .kernarg_segment_align: 8
    .kernarg_segment_size: 104
    .language:       OpenCL C
    .language_version:
      - 2
      - 0
    .max_flat_workgroup_size: 196
    .name:           fft_rtc_back_len1372_factors_2_2_7_7_7_wgs_196_tpt_98_halfLds_sp_op_CI_CI_unitstride_sbrr_C2R_dirReg
    .private_segment_fixed_size: 0
    .sgpr_count:     32
    .sgpr_spill_count: 0
    .symbol:         fft_rtc_back_len1372_factors_2_2_7_7_7_wgs_196_tpt_98_halfLds_sp_op_CI_CI_unitstride_sbrr_C2R_dirReg.kd
    .uniform_work_group_size: 1
    .uses_dynamic_stack: false
    .vgpr_count:     64
    .vgpr_spill_count: 0
    .wavefront_size: 64
amdhsa.target:   amdgcn-amd-amdhsa--gfx906
amdhsa.version:
  - 1
  - 2
...

	.end_amdgpu_metadata
